;; amdgpu-corpus repo=ROCm/rocFFT kind=compiled arch=gfx1201 opt=O3
	.text
	.amdgcn_target "amdgcn-amd-amdhsa--gfx1201"
	.amdhsa_code_object_version 6
	.protected	fft_rtc_fwd_len1617_factors_3_7_7_11_wgs_231_tpt_231_dp_op_CI_CI_sbrr_dirReg ; -- Begin function fft_rtc_fwd_len1617_factors_3_7_7_11_wgs_231_tpt_231_dp_op_CI_CI_sbrr_dirReg
	.globl	fft_rtc_fwd_len1617_factors_3_7_7_11_wgs_231_tpt_231_dp_op_CI_CI_sbrr_dirReg
	.p2align	8
	.type	fft_rtc_fwd_len1617_factors_3_7_7_11_wgs_231_tpt_231_dp_op_CI_CI_sbrr_dirReg,@function
fft_rtc_fwd_len1617_factors_3_7_7_11_wgs_231_tpt_231_dp_op_CI_CI_sbrr_dirReg: ; @fft_rtc_fwd_len1617_factors_3_7_7_11_wgs_231_tpt_231_dp_op_CI_CI_sbrr_dirReg
; %bb.0:
	s_clause 0x2
	s_load_b128 s[12:15], s[0:1], 0x18
	s_load_b128 s[8:11], s[0:1], 0x0
	;; [unrolled: 1-line block ×3, first 2 shown]
	v_mul_u32_u24_e32 v1, 0x11c, v0
	v_mov_b32_e32 v4, 0
	v_mov_b32_e32 v5, 0
	s_wait_kmcnt 0x0
	s_load_b64 s[18:19], s[12:13], 0x0
	s_load_b64 s[16:17], s[14:15], 0x0
	v_lshrrev_b32_e32 v2, 16, v1
	v_mov_b32_e32 v1, 0
	v_cmp_lt_u64_e64 s2, s[10:11], 2
	s_delay_alu instid0(VALU_DEP_2) | instskip(NEXT) | instid1(VALU_DEP_2)
	v_dual_mov_b32 v7, v1 :: v_dual_add_nc_u32 v6, ttmp9, v2
	s_and_b32 vcc_lo, exec_lo, s2
	s_cbranch_vccnz .LBB0_8
; %bb.1:
	s_load_b64 s[2:3], s[0:1], 0x10
	v_mov_b32_e32 v4, 0
	v_mov_b32_e32 v5, 0
	s_add_nc_u64 s[20:21], s[14:15], 8
	s_add_nc_u64 s[22:23], s[12:13], 8
	s_mov_b64 s[24:25], 1
	s_delay_alu instid0(VALU_DEP_1)
	v_dual_mov_b32 v85, v5 :: v_dual_mov_b32 v84, v4
	s_wait_kmcnt 0x0
	s_add_nc_u64 s[26:27], s[2:3], 8
	s_mov_b32 s3, 0
.LBB0_2:                                ; =>This Inner Loop Header: Depth=1
	s_load_b64 s[28:29], s[26:27], 0x0
                                        ; implicit-def: $vgpr86_vgpr87
	s_mov_b32 s2, exec_lo
	s_wait_kmcnt 0x0
	v_or_b32_e32 v2, s29, v7
	s_delay_alu instid0(VALU_DEP_1)
	v_cmpx_ne_u64_e32 0, v[1:2]
	s_wait_alu 0xfffe
	s_xor_b32 s30, exec_lo, s2
	s_cbranch_execz .LBB0_4
; %bb.3:                                ;   in Loop: Header=BB0_2 Depth=1
	s_cvt_f32_u32 s2, s28
	s_cvt_f32_u32 s31, s29
	s_sub_nc_u64 s[36:37], 0, s[28:29]
	s_wait_alu 0xfffe
	s_delay_alu instid0(SALU_CYCLE_1) | instskip(SKIP_1) | instid1(SALU_CYCLE_2)
	s_fmamk_f32 s2, s31, 0x4f800000, s2
	s_wait_alu 0xfffe
	v_s_rcp_f32 s2, s2
	s_delay_alu instid0(TRANS32_DEP_1) | instskip(SKIP_1) | instid1(SALU_CYCLE_2)
	s_mul_f32 s2, s2, 0x5f7ffffc
	s_wait_alu 0xfffe
	s_mul_f32 s31, s2, 0x2f800000
	s_wait_alu 0xfffe
	s_delay_alu instid0(SALU_CYCLE_2) | instskip(SKIP_1) | instid1(SALU_CYCLE_2)
	s_trunc_f32 s31, s31
	s_wait_alu 0xfffe
	s_fmamk_f32 s2, s31, 0xcf800000, s2
	s_cvt_u32_f32 s35, s31
	s_wait_alu 0xfffe
	s_delay_alu instid0(SALU_CYCLE_1) | instskip(SKIP_1) | instid1(SALU_CYCLE_2)
	s_cvt_u32_f32 s34, s2
	s_wait_alu 0xfffe
	s_mul_u64 s[38:39], s[36:37], s[34:35]
	s_wait_alu 0xfffe
	s_mul_hi_u32 s41, s34, s39
	s_mul_i32 s40, s34, s39
	s_mul_hi_u32 s2, s34, s38
	s_mul_i32 s33, s35, s38
	s_wait_alu 0xfffe
	s_add_nc_u64 s[40:41], s[2:3], s[40:41]
	s_mul_hi_u32 s31, s35, s38
	s_mul_hi_u32 s42, s35, s39
	s_add_co_u32 s2, s40, s33
	s_wait_alu 0xfffe
	s_add_co_ci_u32 s2, s41, s31
	s_mul_i32 s38, s35, s39
	s_add_co_ci_u32 s39, s42, 0
	s_wait_alu 0xfffe
	s_add_nc_u64 s[38:39], s[2:3], s[38:39]
	s_wait_alu 0xfffe
	v_add_co_u32 v2, s2, s34, s38
	s_delay_alu instid0(VALU_DEP_1) | instskip(SKIP_1) | instid1(VALU_DEP_1)
	s_cmp_lg_u32 s2, 0
	s_add_co_ci_u32 s35, s35, s39
	v_readfirstlane_b32 s34, v2
	s_wait_alu 0xfffe
	s_delay_alu instid0(VALU_DEP_1)
	s_mul_u64 s[36:37], s[36:37], s[34:35]
	s_wait_alu 0xfffe
	s_mul_hi_u32 s39, s34, s37
	s_mul_i32 s38, s34, s37
	s_mul_hi_u32 s2, s34, s36
	s_mul_i32 s33, s35, s36
	s_wait_alu 0xfffe
	s_add_nc_u64 s[38:39], s[2:3], s[38:39]
	s_mul_hi_u32 s31, s35, s36
	s_mul_hi_u32 s34, s35, s37
	s_wait_alu 0xfffe
	s_add_co_u32 s2, s38, s33
	s_add_co_ci_u32 s2, s39, s31
	s_mul_i32 s36, s35, s37
	s_add_co_ci_u32 s37, s34, 0
	s_wait_alu 0xfffe
	s_add_nc_u64 s[36:37], s[2:3], s[36:37]
	s_wait_alu 0xfffe
	v_add_co_u32 v8, s2, v2, s36
	s_delay_alu instid0(VALU_DEP_1) | instskip(SKIP_1) | instid1(VALU_DEP_1)
	s_cmp_lg_u32 s2, 0
	s_add_co_ci_u32 s2, s35, s37
	v_mul_hi_u32 v12, v6, v8
	s_wait_alu 0xfffe
	v_mad_co_u64_u32 v[2:3], null, v6, s2, 0
	v_mad_co_u64_u32 v[8:9], null, v7, v8, 0
	;; [unrolled: 1-line block ×3, first 2 shown]
	s_delay_alu instid0(VALU_DEP_3) | instskip(SKIP_1) | instid1(VALU_DEP_4)
	v_add_co_u32 v2, vcc_lo, v12, v2
	s_wait_alu 0xfffd
	v_add_co_ci_u32_e32 v3, vcc_lo, 0, v3, vcc_lo
	s_delay_alu instid0(VALU_DEP_2) | instskip(SKIP_1) | instid1(VALU_DEP_2)
	v_add_co_u32 v2, vcc_lo, v2, v8
	s_wait_alu 0xfffd
	v_add_co_ci_u32_e32 v2, vcc_lo, v3, v9, vcc_lo
	s_wait_alu 0xfffd
	v_add_co_ci_u32_e32 v3, vcc_lo, 0, v11, vcc_lo
	s_delay_alu instid0(VALU_DEP_2) | instskip(SKIP_1) | instid1(VALU_DEP_2)
	v_add_co_u32 v8, vcc_lo, v2, v10
	s_wait_alu 0xfffd
	v_add_co_ci_u32_e32 v9, vcc_lo, 0, v3, vcc_lo
	s_delay_alu instid0(VALU_DEP_2) | instskip(SKIP_1) | instid1(VALU_DEP_3)
	v_mul_lo_u32 v10, s29, v8
	v_mad_co_u64_u32 v[2:3], null, s28, v8, 0
	v_mul_lo_u32 v11, s28, v9
	s_delay_alu instid0(VALU_DEP_2) | instskip(NEXT) | instid1(VALU_DEP_2)
	v_sub_co_u32 v2, vcc_lo, v6, v2
	v_add3_u32 v3, v3, v11, v10
	s_delay_alu instid0(VALU_DEP_1) | instskip(SKIP_1) | instid1(VALU_DEP_1)
	v_sub_nc_u32_e32 v10, v7, v3
	s_wait_alu 0xfffd
	v_subrev_co_ci_u32_e64 v10, s2, s29, v10, vcc_lo
	v_add_co_u32 v11, s2, v8, 2
	s_wait_alu 0xf1ff
	v_add_co_ci_u32_e64 v12, s2, 0, v9, s2
	v_sub_co_u32 v13, s2, v2, s28
	v_sub_co_ci_u32_e32 v3, vcc_lo, v7, v3, vcc_lo
	s_wait_alu 0xf1ff
	v_subrev_co_ci_u32_e64 v10, s2, 0, v10, s2
	s_delay_alu instid0(VALU_DEP_3) | instskip(NEXT) | instid1(VALU_DEP_3)
	v_cmp_le_u32_e32 vcc_lo, s28, v13
	v_cmp_eq_u32_e64 s2, s29, v3
	s_wait_alu 0xfffd
	v_cndmask_b32_e64 v13, 0, -1, vcc_lo
	v_cmp_le_u32_e32 vcc_lo, s29, v10
	s_wait_alu 0xfffd
	v_cndmask_b32_e64 v14, 0, -1, vcc_lo
	v_cmp_le_u32_e32 vcc_lo, s28, v2
	;; [unrolled: 3-line block ×3, first 2 shown]
	s_wait_alu 0xfffd
	v_cndmask_b32_e64 v15, 0, -1, vcc_lo
	v_cmp_eq_u32_e32 vcc_lo, s29, v10
	s_wait_alu 0xf1ff
	s_delay_alu instid0(VALU_DEP_2)
	v_cndmask_b32_e64 v2, v15, v2, s2
	s_wait_alu 0xfffd
	v_cndmask_b32_e32 v10, v14, v13, vcc_lo
	v_add_co_u32 v13, vcc_lo, v8, 1
	s_wait_alu 0xfffd
	v_add_co_ci_u32_e32 v14, vcc_lo, 0, v9, vcc_lo
	s_delay_alu instid0(VALU_DEP_3) | instskip(SKIP_1) | instid1(VALU_DEP_2)
	v_cmp_ne_u32_e32 vcc_lo, 0, v10
	s_wait_alu 0xfffd
	v_dual_cndmask_b32 v3, v14, v12 :: v_dual_cndmask_b32 v10, v13, v11
	v_cmp_ne_u32_e32 vcc_lo, 0, v2
	s_wait_alu 0xfffd
	s_delay_alu instid0(VALU_DEP_2)
	v_dual_cndmask_b32 v87, v9, v3 :: v_dual_cndmask_b32 v86, v8, v10
.LBB0_4:                                ;   in Loop: Header=BB0_2 Depth=1
	s_wait_alu 0xfffe
	s_and_not1_saveexec_b32 s2, s30
	s_cbranch_execz .LBB0_6
; %bb.5:                                ;   in Loop: Header=BB0_2 Depth=1
	v_cvt_f32_u32_e32 v2, s28
	s_sub_co_i32 s30, 0, s28
	v_mov_b32_e32 v87, v1
	s_delay_alu instid0(VALU_DEP_2) | instskip(NEXT) | instid1(TRANS32_DEP_1)
	v_rcp_iflag_f32_e32 v2, v2
	v_mul_f32_e32 v2, 0x4f7ffffe, v2
	s_delay_alu instid0(VALU_DEP_1) | instskip(SKIP_1) | instid1(VALU_DEP_1)
	v_cvt_u32_f32_e32 v2, v2
	s_wait_alu 0xfffe
	v_mul_lo_u32 v3, s30, v2
	s_delay_alu instid0(VALU_DEP_1) | instskip(NEXT) | instid1(VALU_DEP_1)
	v_mul_hi_u32 v3, v2, v3
	v_add_nc_u32_e32 v2, v2, v3
	s_delay_alu instid0(VALU_DEP_1) | instskip(NEXT) | instid1(VALU_DEP_1)
	v_mul_hi_u32 v2, v6, v2
	v_mul_lo_u32 v3, v2, s28
	v_add_nc_u32_e32 v8, 1, v2
	s_delay_alu instid0(VALU_DEP_2) | instskip(NEXT) | instid1(VALU_DEP_1)
	v_sub_nc_u32_e32 v3, v6, v3
	v_subrev_nc_u32_e32 v9, s28, v3
	v_cmp_le_u32_e32 vcc_lo, s28, v3
	s_wait_alu 0xfffd
	s_delay_alu instid0(VALU_DEP_2) | instskip(NEXT) | instid1(VALU_DEP_1)
	v_dual_cndmask_b32 v3, v3, v9 :: v_dual_cndmask_b32 v2, v2, v8
	v_cmp_le_u32_e32 vcc_lo, s28, v3
	s_delay_alu instid0(VALU_DEP_2) | instskip(SKIP_1) | instid1(VALU_DEP_1)
	v_add_nc_u32_e32 v8, 1, v2
	s_wait_alu 0xfffd
	v_cndmask_b32_e32 v86, v2, v8, vcc_lo
.LBB0_6:                                ;   in Loop: Header=BB0_2 Depth=1
	s_wait_alu 0xfffe
	s_or_b32 exec_lo, exec_lo, s2
	v_mul_lo_u32 v8, v87, s28
	s_delay_alu instid0(VALU_DEP_2)
	v_mul_lo_u32 v9, v86, s29
	s_load_b64 s[30:31], s[22:23], 0x0
	v_mad_co_u64_u32 v[2:3], null, v86, s28, 0
	s_load_b64 s[28:29], s[20:21], 0x0
	s_add_nc_u64 s[24:25], s[24:25], 1
	s_add_nc_u64 s[20:21], s[20:21], 8
	s_wait_alu 0xfffe
	v_cmp_ge_u64_e64 s2, s[24:25], s[10:11]
	s_add_nc_u64 s[22:23], s[22:23], 8
	s_add_nc_u64 s[26:27], s[26:27], 8
	v_add3_u32 v3, v3, v9, v8
	v_sub_co_u32 v2, vcc_lo, v6, v2
	s_wait_alu 0xfffd
	s_delay_alu instid0(VALU_DEP_2) | instskip(SKIP_2) | instid1(VALU_DEP_1)
	v_sub_co_ci_u32_e32 v3, vcc_lo, v7, v3, vcc_lo
	s_and_b32 vcc_lo, exec_lo, s2
	s_wait_kmcnt 0x0
	v_mul_lo_u32 v6, s30, v3
	v_mul_lo_u32 v7, s31, v2
	v_mad_co_u64_u32 v[4:5], null, s30, v2, v[4:5]
	v_mul_lo_u32 v3, s28, v3
	v_mul_lo_u32 v8, s29, v2
	v_mad_co_u64_u32 v[84:85], null, s28, v2, v[84:85]
	s_delay_alu instid0(VALU_DEP_4) | instskip(NEXT) | instid1(VALU_DEP_2)
	v_add3_u32 v5, v7, v5, v6
	v_add3_u32 v85, v8, v85, v3
	s_wait_alu 0xfffe
	s_cbranch_vccnz .LBB0_9
; %bb.7:                                ;   in Loop: Header=BB0_2 Depth=1
	v_dual_mov_b32 v6, v86 :: v_dual_mov_b32 v7, v87
	s_branch .LBB0_2
.LBB0_8:
	v_dual_mov_b32 v85, v5 :: v_dual_mov_b32 v84, v4
	s_delay_alu instid0(VALU_DEP_2)
	v_dual_mov_b32 v87, v7 :: v_dual_mov_b32 v86, v6
.LBB0_9:
	s_load_b64 s[0:1], s[0:1], 0x28
	v_mul_hi_u32 v1, 0x11bb4a5, v0
	s_lshl_b64 s[10:11], s[10:11], 3
                                        ; implicit-def: $vgpr88
                                        ; implicit-def: $vgpr37
	s_wait_alu 0xfffe
	s_add_nc_u64 s[2:3], s[14:15], s[10:11]
	s_wait_kmcnt 0x0
	v_cmp_gt_u64_e32 vcc_lo, s[0:1], v[86:87]
	v_cmp_le_u64_e64 s0, s[0:1], v[86:87]
	s_delay_alu instid0(VALU_DEP_1)
	s_and_saveexec_b32 s1, s0
	s_wait_alu 0xfffe
	s_xor_b32 s0, exec_lo, s1
; %bb.10:
	v_mul_u32_u24_e32 v1, 0xe7, v1
                                        ; implicit-def: $vgpr4_vgpr5
	s_delay_alu instid0(VALU_DEP_1) | instskip(NEXT) | instid1(VALU_DEP_1)
	v_sub_nc_u32_e32 v88, v0, v1
                                        ; implicit-def: $vgpr1
                                        ; implicit-def: $vgpr0
	v_add_nc_u32_e32 v37, 0xe7, v88
; %bb.11:
	s_wait_alu 0xfffe
	s_or_saveexec_b32 s1, s0
	s_load_b64 s[2:3], s[2:3], 0x0
                                        ; implicit-def: $vgpr34_vgpr35
                                        ; implicit-def: $vgpr22_vgpr23
                                        ; implicit-def: $vgpr18_vgpr19
                                        ; implicit-def: $vgpr6_vgpr7
                                        ; implicit-def: $vgpr14_vgpr15
                                        ; implicit-def: $vgpr10_vgpr11
                                        ; implicit-def: $vgpr2_vgpr3
                                        ; implicit-def: $vgpr30_vgpr31
                                        ; implicit-def: $vgpr26_vgpr27
	s_xor_b32 exec_lo, exec_lo, s1
	s_cbranch_execz .LBB0_15
; %bb.12:
	s_add_nc_u64 s[10:11], s[12:13], s[10:11]
	v_mul_u32_u24_e32 v1, 0xe7, v1
	s_load_b64 s[10:11], s[10:11], 0x0
                                        ; implicit-def: $vgpr32_vgpr33
	s_delay_alu instid0(VALU_DEP_1) | instskip(SKIP_1) | instid1(VALU_DEP_2)
	v_sub_nc_u32_e32 v88, v0, v1
	v_lshlrev_b64_e32 v[0:1], 4, v[4:5]
	v_add_nc_u32_e32 v15, 0x21b, v88
	v_mad_co_u64_u32 v[2:3], null, s18, v88, 0
	v_add_nc_u32_e32 v17, 0x436, v88
	v_add_nc_u32_e32 v37, 0xe7, v88
	s_delay_alu instid0(VALU_DEP_4) | instskip(SKIP_1) | instid1(VALU_DEP_4)
	v_mad_co_u64_u32 v[4:5], null, s18, v15, 0
	v_add_nc_u32_e32 v21, 0x51d, v88
	v_mad_co_u64_u32 v[6:7], null, s18, v17, 0
	s_delay_alu instid0(VALU_DEP_4)
	v_mad_co_u64_u32 v[10:11], null, s18, v37, 0
	s_wait_kmcnt 0x0
	v_mul_lo_u32 v16, s11, v86
	v_mul_lo_u32 v18, s10, v87
	v_mad_co_u64_u32 v[8:9], null, s10, v86, 0
	v_mad_co_u64_u32 v[12:13], null, s19, v88, v[3:4]
	v_add_nc_u32_e32 v20, 0x302, v88
	s_delay_alu instid0(VALU_DEP_3) | instskip(SKIP_1) | instid1(VALU_DEP_4)
	v_add3_u32 v9, v9, v18, v16
	v_mad_co_u64_u32 v[15:16], null, s19, v15, v[5:6]
	v_mov_b32_e32 v3, v12
	s_delay_alu instid0(VALU_DEP_4) | instskip(NEXT) | instid1(VALU_DEP_4)
	v_mad_co_u64_u32 v[13:14], null, s18, v20, 0
	v_lshlrev_b64_e32 v[8:9], 4, v[8:9]
	s_delay_alu instid0(VALU_DEP_3) | instskip(SKIP_1) | instid1(VALU_DEP_3)
	v_lshlrev_b64_e32 v[2:3], 4, v[2:3]
	v_mov_b32_e32 v5, v15
	v_mad_co_u64_u32 v[16:17], null, s19, v17, v[7:8]
	v_add_co_u32 v7, s0, s4, v8
	s_wait_alu 0xf1ff
	v_add_co_ci_u32_e64 v8, s0, s5, v9, s0
	v_lshlrev_b64_e32 v[4:5], 4, v[4:5]
	s_delay_alu instid0(VALU_DEP_3) | instskip(SKIP_1) | instid1(VALU_DEP_3)
	v_add_co_u32 v18, s0, v7, v0
	s_wait_alu 0xf1ff
	v_add_co_ci_u32_e64 v19, s0, v8, v1, s0
	v_mad_co_u64_u32 v[0:1], null, s19, v37, v[11:12]
	v_mad_co_u64_u32 v[8:9], null, s18, v21, 0
	v_add_co_u32 v1, s0, v18, v2
	s_wait_alu 0xf1ff
	v_add_co_ci_u32_e64 v2, s0, v19, v3, s0
	v_mov_b32_e32 v3, v14
	s_delay_alu instid0(VALU_DEP_4) | instskip(SKIP_2) | instid1(VALU_DEP_3)
	v_dual_mov_b32 v11, v0 :: v_dual_mov_b32 v0, v9
	v_mov_b32_e32 v7, v16
	s_mov_b32 s4, exec_lo
	v_mad_co_u64_u32 v[14:15], null, s19, v20, v[3:4]
	s_delay_alu instid0(VALU_DEP_3)
	v_mad_co_u64_u32 v[15:16], null, s19, v21, v[0:1]
	v_add_co_u32 v3, s0, v18, v4
	s_wait_alu 0xf1ff
	v_add_co_ci_u32_e64 v4, s0, v19, v5, s0
	v_lshlrev_b64_e32 v[5:6], 4, v[6:7]
	v_lshlrev_b64_e32 v[10:11], 4, v[10:11]
	v_mov_b32_e32 v9, v15
	v_lshlrev_b64_e32 v[12:13], 4, v[13:14]
                                        ; implicit-def: $vgpr20_vgpr21
	s_delay_alu instid0(VALU_DEP_4)
	v_add_co_u32 v5, s0, v18, v5
	s_wait_alu 0xf1ff
	v_add_co_ci_u32_e64 v6, s0, v19, v6, s0
	v_add_co_u32 v10, s0, v18, v10
	v_lshlrev_b64_e32 v[7:8], 4, v[8:9]
	s_wait_alu 0xf1ff
	v_add_co_ci_u32_e64 v11, s0, v19, v11, s0
	v_add_co_u32 v12, s0, v18, v12
	s_wait_alu 0xf1ff
	v_add_co_ci_u32_e64 v13, s0, v19, v13, s0
	v_add_co_u32 v16, s0, v18, v7
	s_wait_alu 0xf1ff
	v_add_co_ci_u32_e64 v17, s0, v19, v8, s0
	s_clause 0x5
	global_load_b128 v[24:27], v[1:2], off
	global_load_b128 v[28:31], v[3:4], off
	;; [unrolled: 1-line block ×6, first 2 shown]
                                        ; implicit-def: $vgpr16_vgpr17
	v_cmpx_gt_u32_e32 0x4d, v88
	s_cbranch_execz .LBB0_14
; %bb.13:
	v_add_nc_u32_e32 v32, 0x1ce, v88
	v_add_nc_u32_e32 v35, 0x604, v88
	s_delay_alu instid0(VALU_DEP_2) | instskip(NEXT) | instid1(VALU_DEP_2)
	v_mad_co_u64_u32 v[16:17], null, s18, v32, 0
	v_mad_co_u64_u32 v[22:23], null, s18, v35, 0
	s_delay_alu instid0(VALU_DEP_2) | instskip(NEXT) | instid1(VALU_DEP_1)
	v_mad_co_u64_u32 v[32:33], null, s19, v32, v[17:18]
	v_dual_mov_b32 v17, v32 :: v_dual_add_nc_u32 v34, 0x3e9, v88
	s_delay_alu instid0(VALU_DEP_1) | instskip(NEXT) | instid1(VALU_DEP_2)
	v_mad_co_u64_u32 v[20:21], null, s18, v34, 0
	v_lshlrev_b64_e32 v[16:17], 4, v[16:17]
	s_delay_alu instid0(VALU_DEP_2) | instskip(SKIP_2) | instid1(VALU_DEP_3)
	v_mad_co_u64_u32 v[33:34], null, s19, v34, v[21:22]
	s_wait_loadcnt 0x5
	v_mad_co_u64_u32 v[34:35], null, s19, v35, v[23:24]
	v_add_co_u32 v16, s0, v18, v16
	s_wait_alu 0xf1ff
	v_add_co_ci_u32_e64 v17, s0, v19, v17, s0
	s_delay_alu instid0(VALU_DEP_4) | instskip(NEXT) | instid1(VALU_DEP_4)
	v_mov_b32_e32 v21, v33
	v_mov_b32_e32 v23, v34
	s_delay_alu instid0(VALU_DEP_2) | instskip(NEXT) | instid1(VALU_DEP_2)
	v_lshlrev_b64_e32 v[20:21], 4, v[20:21]
	v_lshlrev_b64_e32 v[22:23], 4, v[22:23]
	s_delay_alu instid0(VALU_DEP_2) | instskip(SKIP_1) | instid1(VALU_DEP_3)
	v_add_co_u32 v20, s0, v18, v20
	s_wait_alu 0xf1ff
	v_add_co_ci_u32_e64 v21, s0, v19, v21, s0
	s_delay_alu instid0(VALU_DEP_3)
	v_add_co_u32 v32, s0, v18, v22
	s_wait_alu 0xf1ff
	v_add_co_ci_u32_e64 v33, s0, v19, v23, s0
	s_clause 0x2
	global_load_b128 v[16:19], v[16:17], off
	global_load_b128 v[20:23], v[20:21], off
	;; [unrolled: 1-line block ×3, first 2 shown]
.LBB0_14:
	s_wait_alu 0xfffe
	s_or_b32 exec_lo, exec_lo, s4
.LBB0_15:
	s_delay_alu instid0(SALU_CYCLE_1)
	s_or_b32 exec_lo, exec_lo, s1
	s_wait_loadcnt 0x0
	v_add_f64_e32 v[46:47], v[32:33], v[20:21]
	v_add_f64_e32 v[48:49], v[34:35], v[22:23]
	;; [unrolled: 1-line block ×7, first 2 shown]
	v_add_f64_e64 v[52:53], v[30:31], -v[2:3]
	v_add_f64_e32 v[30:31], v[30:31], v[26:27]
	v_add_f64_e32 v[54:55], v[12:13], v[8:9]
	;; [unrolled: 1-line block ×3, first 2 shown]
	v_add_f64_e64 v[66:67], v[22:23], -v[34:35]
	v_add_f64_e64 v[70:71], v[20:21], -v[32:33]
	;; [unrolled: 1-line block ×5, first 2 shown]
	s_mov_b32 s0, 0xe8584caa
	s_mov_b32 s1, 0x3febb67a
	;; [unrolled: 1-line block ×3, first 2 shown]
	s_wait_alu 0xfffe
	s_mov_b32 s4, s0
	v_mad_u32_u24 v36, v88, 48, 0
	v_fma_f64 v[68:69], v[46:47], -0.5, v[16:17]
	v_fma_f64 v[72:73], v[48:49], -0.5, v[18:19]
	;; [unrolled: 1-line block ×6, first 2 shown]
	v_add_f64_e32 v[9:10], v[0:1], v[50:51]
	v_mad_i32_i24 v8, v37, 48, 0
	v_add_f64_e32 v[11:12], v[2:3], v[30:31]
	v_add_f64_e32 v[24:25], v[4:5], v[54:55]
	;; [unrolled: 1-line block ×3, first 2 shown]
	v_fma_f64 v[0:1], v[66:67], s[0:1], v[68:69]
	s_wait_alu 0xfffe
	v_fma_f64 v[4:5], v[66:67], s[4:5], v[68:69]
	v_fma_f64 v[2:3], v[70:71], s[4:5], v[72:73]
	;; [unrolled: 1-line block ×11, first 2 shown]
	s_mov_b32 s1, exec_lo
	ds_store_b128 v36, v[9:12]
	ds_store_b128 v36, v[28:31] offset:16
	ds_store_b128 v36, v[38:41] offset:32
	ds_store_b128 v8, v[24:27]
	ds_store_b128 v8, v[42:45] offset:16
	ds_store_b128 v8, v[46:49] offset:32
	v_cmpx_gt_u32_e32 0x4d, v88
	s_cbranch_execz .LBB0_17
; %bb.16:
	v_add_f64_e32 v[9:10], v[22:23], v[18:19]
	v_add_f64_e32 v[13:14], v[20:21], v[16:17]
	s_delay_alu instid0(VALU_DEP_2) | instskip(NEXT) | instid1(VALU_DEP_2)
	v_add_f64_e32 v[11:12], v[34:35], v[9:10]
	v_add_f64_e32 v[9:10], v[32:33], v[13:14]
	ds_store_b128 v36, v[9:12] offset:22176
	ds_store_b128 v36, v[0:3] offset:22192
	;; [unrolled: 1-line block ×3, first 2 shown]
.LBB0_17:
	s_wait_alu 0xfffe
	s_or_b32 exec_lo, exec_lo, s1
	v_and_b32_e32 v35, 0xff, v88
	global_wb scope:SCOPE_SE
	s_wait_dscnt 0x0
	s_wait_kmcnt 0x0
	s_barrier_signal -1
	s_barrier_wait -1
	global_inv scope:SCOPE_SE
	v_mul_lo_u16 v9, 0xab, v35
	v_lshlrev_b32_e32 v33, 5, v37
	v_lshlrev_b32_e32 v37, 5, v88
	s_mov_b32 s4, 0x37e14327
	s_mov_b32 s10, 0xe976ee23
	v_lshrrev_b16 v72, 9, v9
	v_sub_nc_u32_e32 v74, v8, v33
	v_sub_nc_u32_e32 v8, v36, v37
	s_mov_b32 s5, 0x3fe948f6
	s_mov_b32 s11, 0xbfe11646
	v_mul_lo_u16 v9, v72, 3
	s_mov_b32 s0, 0x429ad128
	s_mov_b32 s1, 0x3febfeb5
	;; [unrolled: 1-line block ×4, first 2 shown]
	v_sub_nc_u16 v9, v88, v9
	s_mov_b32 s14, 0xaaaaaaaa
	s_mov_b32 s22, 0xb247c609
	;; [unrolled: 1-line block ×4, first 2 shown]
	v_and_b32_e32 v73, 0xff, v9
	s_mov_b32 s23, 0x3fd5d0dc
	s_mov_b32 s19, 0x3fe77f67
	;; [unrolled: 1-line block ×4, first 2 shown]
	v_mul_u32_u24_e32 v9, 6, v73
	s_wait_alu 0xfffe
	s_mov_b32 s20, s18
	s_mov_b32 s24, s22
	;; [unrolled: 1-line block ×4, first 2 shown]
	v_lshlrev_b32_e32 v29, 4, v9
	s_clause 0x5
	global_load_b128 v[9:12], v29, s[8:9]
	global_load_b128 v[13:16], v29, s[8:9] offset:16
	global_load_b128 v[17:20], v29, s[8:9] offset:80
	global_load_b128 v[21:24], v29, s[8:9] offset:64
	global_load_b128 v[25:28], v29, s[8:9] offset:32
	global_load_b128 v[29:32], v29, s[8:9] offset:48
	ds_load_b128 v[38:41], v74
	ds_load_b128 v[42:45], v8 offset:7392
	ds_load_b128 v[46:49], v8 offset:22176
	;; [unrolled: 1-line block ×5, first 2 shown]
	s_wait_loadcnt_dscnt 0x505
	v_mul_f64_e32 v[33:34], v[40:41], v[11:12]
	v_mul_f64_e32 v[11:12], v[38:39], v[11:12]
	s_wait_loadcnt_dscnt 0x404
	v_mul_f64_e32 v[62:63], v[44:45], v[15:16]
	v_mul_f64_e32 v[15:16], v[42:43], v[15:16]
	;; [unrolled: 3-line block ×6, first 2 shown]
	v_fma_f64 v[33:34], v[38:39], v[9:10], -v[33:34]
	v_fma_f64 v[9:10], v[40:41], v[9:10], v[11:12]
	v_fma_f64 v[11:12], v[42:43], v[13:14], -v[62:63]
	v_fma_f64 v[13:14], v[44:45], v[13:14], v[15:16]
	;; [unrolled: 2-line block ×6, first 2 shown]
	v_add_f64_e32 v[31:32], v[33:34], v[15:16]
	v_add_f64_e32 v[38:39], v[9:10], v[17:18]
	;; [unrolled: 1-line block ×4, first 2 shown]
	v_add_f64_e64 v[19:20], v[11:12], -v[19:20]
	v_add_f64_e64 v[13:14], v[13:14], -v[21:22]
	v_add_f64_e32 v[11:12], v[23:24], v[27:28]
	v_add_f64_e32 v[21:22], v[25:26], v[29:30]
	v_add_f64_e64 v[23:24], v[27:28], -v[23:24]
	v_add_f64_e64 v[25:26], v[29:30], -v[25:26]
	;; [unrolled: 1-line block ×4, first 2 shown]
	v_add_f64_e32 v[9:10], v[40:41], v[31:32]
	v_add_f64_e32 v[27:28], v[42:43], v[38:39]
	v_add_f64_e64 v[29:30], v[31:32], -v[11:12]
	v_add_f64_e64 v[33:34], v[38:39], -v[21:22]
	;; [unrolled: 1-line block ×7, first 2 shown]
	v_add_f64_e32 v[19:20], v[23:24], v[19:20]
	v_add_f64_e32 v[13:14], v[25:26], v[13:14]
	v_add_f64_e64 v[23:24], v[15:16], -v[23:24]
	v_add_f64_e64 v[25:26], v[17:18], -v[25:26]
	;; [unrolled: 1-line block ×4, first 2 shown]
	v_add_f64_e32 v[52:53], v[11:12], v[9:10]
	v_add_f64_e32 v[27:28], v[21:22], v[27:28]
	v_add_f64_e64 v[21:22], v[21:22], -v[42:43]
	ds_load_b128 v[9:12], v8
	v_mul_f64_e32 v[29:30], s[4:5], v[29:30]
	v_mul_f64_e32 v[33:34], s[4:5], v[33:34]
	;; [unrolled: 1-line block ×7, first 2 shown]
	v_add_f64_e32 v[15:16], v[19:20], v[15:16]
	v_add_f64_e32 v[13:14], v[13:14], v[17:18]
	global_wb scope:SCOPE_SE
	s_wait_dscnt 0x0
	s_barrier_signal -1
	s_barrier_wait -1
	global_inv scope:SCOPE_SE
	v_add_f64_e32 v[9:10], v[9:10], v[52:53]
	v_add_f64_e32 v[11:12], v[11:12], v[27:28]
	v_mul_f64_e32 v[42:43], s[12:13], v[21:22]
	v_fma_f64 v[17:18], v[54:55], s[12:13], v[29:30]
	v_fma_f64 v[19:20], v[21:22], s[12:13], v[33:34]
	;; [unrolled: 1-line block ×4, first 2 shown]
	v_fma_f64 v[44:45], v[48:49], s[0:1], -v[44:45]
	s_wait_alu 0xfffe
	v_fma_f64 v[23:24], v[23:24], s[24:25], -v[56:57]
	v_fma_f64 v[25:26], v[25:26], s[24:25], -v[58:59]
	;; [unrolled: 1-line block ×6, first 2 shown]
	v_fma_f64 v[48:49], v[52:53], s[14:15], v[9:10]
	v_fma_f64 v[27:28], v[27:28], s[14:15], v[11:12]
	v_fma_f64 v[38:39], v[38:39], s[18:19], -v[42:43]
	v_fma_f64 v[40:41], v[15:16], s[26:27], v[21:22]
	v_fma_f64 v[42:43], v[13:14], s[26:27], v[54:55]
	;; [unrolled: 1-line block ×6, first 2 shown]
	v_mul_lo_u16 v13, 0x87, v35
	s_delay_alu instid0(VALU_DEP_1) | instskip(NEXT) | instid1(VALU_DEP_1)
	v_lshrrev_b16 v13, 8, v13
	v_sub_nc_u16 v14, v88, v13
	s_delay_alu instid0(VALU_DEP_1) | instskip(NEXT) | instid1(VALU_DEP_1)
	v_lshrrev_b16 v14, 1, v14
	v_and_b32_e32 v14, 0x7f, v14
	v_add_f64_e32 v[54:55], v[17:18], v[48:49]
	v_add_f64_e32 v[56:57], v[19:20], v[27:28]
	;; [unrolled: 1-line block ×6, first 2 shown]
	v_add_nc_u16 v35, v14, v13
	v_add_f64_e32 v[13:14], v[42:43], v[54:55]
	v_add_f64_e64 v[15:16], v[56:57], -v[40:41]
	v_add_f64_e32 v[17:18], v[52:53], v[29:30]
	v_add_f64_e64 v[19:20], v[33:34], -v[50:51]
	v_add_f64_e64 v[21:22], v[25:26], -v[46:47]
	v_add_f64_e32 v[23:24], v[44:45], v[27:28]
	v_add_f64_e32 v[31:32], v[50:51], v[33:34]
	v_lshrrev_b16 v33, 4, v35
	v_add_f64_e32 v[25:26], v[46:47], v[25:26]
	v_add_f64_e64 v[27:28], v[27:28], -v[44:45]
	v_add_f64_e64 v[29:30], v[29:30], -v[52:53]
	;; [unrolled: 1-line block ×3, first 2 shown]
	v_add_f64_e32 v[40:41], v[40:41], v[56:57]
	v_and_b32_e32 v75, 15, v33
	v_and_b32_e32 v34, 0xffff, v72
	v_lshlrev_b32_e32 v35, 4, v73
	s_delay_alu instid0(VALU_DEP_3) | instskip(NEXT) | instid1(VALU_DEP_3)
	v_mul_lo_u16 v33, v75, 21
	v_mul_u32_u24_e32 v34, 0x150, v34
	s_delay_alu instid0(VALU_DEP_2) | instskip(NEXT) | instid1(VALU_DEP_1)
	v_sub_nc_u16 v33, v88, v33
	v_and_b32_e32 v72, 0xff, v33
	s_delay_alu instid0(VALU_DEP_3)
	v_add3_u32 v33, 0, v34, v35
	ds_store_b128 v33, v[9:12]
	ds_store_b128 v33, v[13:16] offset:48
	ds_store_b128 v33, v[17:20] offset:96
	;; [unrolled: 1-line block ×6, first 2 shown]
	v_mul_u32_u24_e32 v34, 6, v72
	global_wb scope:SCOPE_SE
	s_wait_dscnt 0x0
	s_barrier_signal -1
	s_barrier_wait -1
	global_inv scope:SCOPE_SE
	v_lshlrev_b32_e32 v34, 4, v34
	s_clause 0x5
	global_load_b128 v[9:12], v34, s[8:9] offset:288
	global_load_b128 v[13:16], v34, s[8:9] offset:304
	;; [unrolled: 1-line block ×6, first 2 shown]
	ds_load_b128 v[38:41], v74
	ds_load_b128 v[42:45], v8 offset:7392
	ds_load_b128 v[46:49], v8 offset:22176
	;; [unrolled: 1-line block ×5, first 2 shown]
	s_wait_loadcnt_dscnt 0x505
	v_mul_f64_e32 v[33:34], v[40:41], v[11:12]
	v_mul_f64_e32 v[11:12], v[38:39], v[11:12]
	s_wait_loadcnt_dscnt 0x404
	v_mul_f64_e32 v[62:63], v[44:45], v[15:16]
	v_mul_f64_e32 v[15:16], v[42:43], v[15:16]
	;; [unrolled: 3-line block ×6, first 2 shown]
	v_fma_f64 v[33:34], v[38:39], v[9:10], -v[33:34]
	v_fma_f64 v[9:10], v[40:41], v[9:10], v[11:12]
	v_fma_f64 v[11:12], v[42:43], v[13:14], -v[62:63]
	v_fma_f64 v[13:14], v[44:45], v[13:14], v[15:16]
	;; [unrolled: 2-line block ×6, first 2 shown]
	v_add_f64_e32 v[31:32], v[33:34], v[15:16]
	v_add_f64_e32 v[38:39], v[9:10], v[17:18]
	;; [unrolled: 1-line block ×4, first 2 shown]
	v_add_f64_e64 v[19:20], v[11:12], -v[19:20]
	v_add_f64_e64 v[12:13], v[13:14], -v[21:22]
	v_add_f64_e32 v[21:22], v[23:24], v[27:28]
	v_add_f64_e32 v[44:45], v[25:26], v[29:30]
	v_add_f64_e64 v[23:24], v[27:28], -v[23:24]
	v_add_f64_e64 v[25:26], v[29:30], -v[25:26]
	;; [unrolled: 1-line block ×4, first 2 shown]
	v_add_f64_e32 v[9:10], v[40:41], v[31:32]
	v_add_f64_e32 v[27:28], v[42:43], v[38:39]
	v_add_f64_e64 v[29:30], v[31:32], -v[21:22]
	v_add_f64_e64 v[33:34], v[38:39], -v[44:45]
	;; [unrolled: 1-line block ×6, first 2 shown]
	v_add_f64_e32 v[18:19], v[23:24], v[19:20]
	v_add_f64_e32 v[12:13], v[25:26], v[12:13]
	v_add_f64_e64 v[23:24], v[14:15], -v[23:24]
	v_add_f64_e64 v[25:26], v[16:17], -v[25:26]
	;; [unrolled: 1-line block ×4, first 2 shown]
	v_add_f64_e32 v[54:55], v[21:22], v[9:10]
	v_add_f64_e32 v[27:28], v[44:45], v[27:28]
	v_add_f64_e64 v[21:22], v[21:22], -v[40:41]
	v_add_f64_e64 v[44:45], v[44:45], -v[42:43]
	ds_load_b128 v[8:11], v8
	v_mul_f64_e32 v[29:30], s[4:5], v[29:30]
	v_mul_f64_e32 v[33:34], s[4:5], v[33:34]
	;; [unrolled: 1-line block ×6, first 2 shown]
	v_add_f64_e32 v[14:15], v[18:19], v[14:15]
	v_add_f64_e32 v[12:13], v[12:13], v[16:17]
	global_wb scope:SCOPE_SE
	s_wait_dscnt 0x0
	s_barrier_signal -1
	s_barrier_wait -1
	global_inv scope:SCOPE_SE
	v_add_f64_e32 v[8:9], v[8:9], v[54:55]
	v_add_f64_e32 v[10:11], v[10:11], v[27:28]
	v_mul_f64_e32 v[40:41], s[12:13], v[21:22]
	v_mul_f64_e32 v[42:43], s[12:13], v[44:45]
	v_fma_f64 v[16:17], v[21:22], s[12:13], v[29:30]
	v_fma_f64 v[18:19], v[44:45], s[12:13], v[33:34]
	;; [unrolled: 1-line block ×4, first 2 shown]
	v_fma_f64 v[46:47], v[50:51], s[0:1], -v[46:47]
	v_fma_f64 v[48:49], v[52:53], s[0:1], -v[48:49]
	;; [unrolled: 1-line block ×5, first 2 shown]
	v_cmp_gt_u32_e64 s0, 0x93, v88
	v_fma_f64 v[50:51], v[54:55], s[14:15], v[8:9]
	v_fma_f64 v[26:27], v[27:28], s[14:15], v[10:11]
	v_fma_f64 v[28:29], v[31:32], s[20:21], -v[29:30]
	v_fma_f64 v[30:31], v[31:32], s[18:19], -v[40:41]
	;; [unrolled: 1-line block ×3, first 2 shown]
	v_fma_f64 v[40:41], v[14:15], s[26:27], v[20:21]
	v_fma_f64 v[42:43], v[12:13], s[26:27], v[44:45]
	;; [unrolled: 1-line block ×6, first 2 shown]
	v_add_f64_e32 v[52:53], v[16:17], v[50:51]
	v_add_f64_e32 v[54:55], v[18:19], v[26:27]
	;; [unrolled: 1-line block ×6, first 2 shown]
	v_and_b32_e32 v38, 0xffff, v75
	v_lshlrev_b32_e32 v39, 4, v72
	s_delay_alu instid0(VALU_DEP_2) | instskip(NEXT) | instid1(VALU_DEP_1)
	v_mul_u32_u24_e32 v38, 0x930, v38
	v_add3_u32 v38, 0, v38, v39
	v_add_f64_e32 v[24:25], v[42:43], v[52:53]
	v_add_f64_e64 v[26:27], v[54:55], -v[40:41]
	v_add_f64_e32 v[16:17], v[48:49], v[28:29]
	v_add_f64_e64 v[18:19], v[32:33], -v[46:47]
	v_add_f64_e64 v[12:13], v[22:23], -v[20:21]
	v_add_f64_e32 v[14:15], v[44:45], v[30:31]
	v_add_f64_e32 v[20:21], v[20:21], v[22:23]
	v_add_f64_e64 v[22:23], v[30:31], -v[44:45]
	v_add_f64_e64 v[28:29], v[28:29], -v[48:49]
	v_add_f64_e32 v[30:31], v[46:47], v[32:33]
	v_add_f64_e64 v[32:33], v[52:53], -v[42:43]
	v_add_f64_e32 v[34:35], v[40:41], v[54:55]
                                        ; implicit-def: $vgpr42_vgpr43
	ds_store_b128 v38, v[8:11]
	ds_store_b128 v38, v[24:27] offset:336
	ds_store_b128 v38, v[16:19] offset:672
	;; [unrolled: 1-line block ×6, first 2 shown]
	global_wb scope:SCOPE_SE
	s_wait_dscnt 0x0
	s_barrier_signal -1
	s_barrier_wait -1
	global_inv scope:SCOPE_SE
                                        ; implicit-def: $vgpr38_vgpr39
	s_and_saveexec_b32 s1, s0
	s_cbranch_execz .LBB0_19
; %bb.18:
	v_sub_nc_u32_e32 v0, 0, v37
	s_delay_alu instid0(VALU_DEP_1)
	v_add_nc_u32_e32 v40, v36, v0
	ds_load_b128 v[8:11], v40
	ds_load_b128 v[24:27], v40 offset:2352
	ds_load_b128 v[16:19], v40 offset:4704
	;; [unrolled: 1-line block ×10, first 2 shown]
.LBB0_19:
	s_wait_alu 0xfffe
	s_or_b32 exec_lo, exec_lo, s1
	v_cmp_gt_u32_e64 s1, 0x93, v88
	s_delay_alu instid0(VALU_DEP_1)
	s_and_b32 s1, vcc_lo, s1
	s_wait_alu 0xfffe
	s_and_saveexec_b32 s4, s1
	s_cbranch_execz .LBB0_21
; %bb.20:
	v_dual_mov_b32 v45, 0 :: v_dual_add_nc_u32 v44, 0xffffff6d, v88
	v_add_nc_u32_e32 v118, 0x93, v88
	v_mul_lo_u32 v113, s3, v86
	v_mul_lo_u32 v114, s2, v87
	s_delay_alu instid0(VALU_DEP_4) | instskip(SKIP_2) | instid1(VALU_DEP_3)
	v_cndmask_b32_e64 v44, v44, v88, s0
	v_mad_co_u64_u32 v[86:87], null, s2, v86, 0
	v_mad_co_u64_u32 v[89:90], null, s16, v88, 0
	v_mul_i32_i24_e32 v44, 10, v44
	v_mad_co_u64_u32 v[91:92], null, s16, v118, 0
	v_add_nc_u32_e32 v128, 0x126, v88
	v_add3_u32 v87, v87, v114, v113
	s_delay_alu instid0(VALU_DEP_4)
	v_lshlrev_b64_e32 v[44:45], 4, v[44:45]
	v_add_nc_u32_e32 v130, 0x1b9, v88
	v_add_nc_u32_e32 v132, 0x2df, v88
	v_mad_co_u64_u32 v[95:96], null, s16, v128, 0
	v_mad_co_u64_u32 v[113:114], null, s17, v88, v[90:91]
	v_add_co_u32 v64, vcc_lo, s8, v44
	s_wait_alu 0xfffd
	v_add_co_ci_u32_e32 v65, vcc_lo, s9, v45, vcc_lo
	v_mad_co_u64_u32 v[97:98], null, s16, v130, 0
	s_clause 0x9
	global_load_b128 v[44:47], v[64:65], off offset:2304
	global_load_b128 v[48:51], v[64:65], off offset:2448
	;; [unrolled: 1-line block ×10, first 2 shown]
	v_add_nc_u32_e32 v131, 0x24c, v88
	v_add_nc_u32_e32 v133, 0x372, v88
	;; [unrolled: 1-line block ×4, first 2 shown]
	v_mov_b32_e32 v90, v98
	v_add_nc_u32_e32 v144, 0x52b, v88
	v_dual_mov_b32 v88, v96 :: v_dual_add_nc_u32 v145, 0x5be, v88
	v_mad_co_u64_u32 v[99:100], null, s16, v131, 0
	v_mad_co_u64_u32 v[101:102], null, s16, v132, 0
	;; [unrolled: 1-line block ×4, first 2 shown]
	s_delay_alu instid0(VALU_DEP_4)
	v_mov_b32_e32 v96, v100
	v_mad_co_u64_u32 v[128:129], null, s17, v128, v[88:89]
	v_mov_b32_e32 v98, v102
	v_mov_b32_e32 v100, v104
	v_mad_co_u64_u32 v[129:130], null, s17, v130, v[90:91]
	v_mov_b32_e32 v102, v106
	v_mad_co_u64_u32 v[130:131], null, s17, v131, v[96:97]
	v_mad_co_u64_u32 v[131:132], null, s17, v132, v[98:99]
	;; [unrolled: 1-line block ×3, first 2 shown]
	s_delay_alu instid0(VALU_DEP_4)
	v_mad_co_u64_u32 v[133:134], null, s17, v134, v[102:103]
	v_lshlrev_b64_e32 v[86:87], 4, v[86:87]
	v_lshlrev_b64_e32 v[84:85], 4, v[84:85]
	v_mov_b32_e32 v96, v128
	v_mad_co_u64_u32 v[107:108], null, s16, v142, 0
	v_mad_co_u64_u32 v[109:110], null, s16, v144, 0
	;; [unrolled: 1-line block ×3, first 2 shown]
	v_mov_b32_e32 v90, v113
	s_mov_b32 s24, 0x640f44db
	s_delay_alu instid0(VALU_DEP_4) | instskip(SKIP_1) | instid1(VALU_DEP_4)
	v_mov_b32_e32 v104, v108
	s_mov_b32 s8, 0xd9c712b6
	v_mov_b32_e32 v106, v110
	s_mov_b32 s0, 0x7f775887
	s_delay_alu instid0(VALU_DEP_4)
	v_mov_b32_e32 v108, v112
	v_mad_co_u64_u32 v[142:143], null, s17, v142, v[104:105]
	v_mov_b32_e32 v104, v132
	s_mov_b32 s10, 0xbb3a28a1
	s_mov_b32 s4, 0x9bcd5057
	;; [unrolled: 1-line block ×16, first 2 shown]
	s_wait_alu 0xfffe
	s_mov_b32 s18, s12
	s_mov_b32 s20, s10
	;; [unrolled: 1-line block ×7, first 2 shown]
	v_mov_b32_e32 v98, v129
	v_mov_b32_e32 v100, v130
	v_mov_b32_e32 v102, v131
	s_mov_b32 s35, 0x3fed1bb4
	s_mov_b32 s31, 0x3fe14ced
	;; [unrolled: 1-line block ×4, first 2 shown]
	s_wait_loadcnt_dscnt 0x909
	v_mul_f64_e32 v[93:94], v[26:27], v[44:45]
	v_mul_f64_e32 v[26:27], v[26:27], v[46:47]
	s_wait_loadcnt_dscnt 0x800
	v_mul_f64_e32 v[114:115], v[42:43], v[48:49]
	s_wait_loadcnt 0x7
	v_mul_f64_e32 v[116:117], v[18:19], v[80:81]
	v_mul_f64_e32 v[18:19], v[18:19], v[82:83]
	v_mul_f64_e32 v[42:43], v[42:43], v[50:51]
	s_wait_loadcnt 0x3
	v_mul_f64_e32 v[120:121], v[38:39], v[76:77]
	s_wait_loadcnt 0x2
	v_mul_f64_e32 v[122:123], v[14:15], v[72:73]
	s_wait_loadcnt 0x1
	v_mul_f64_e32 v[124:125], v[6:7], v[68:69]
	s_wait_loadcnt 0x0
	v_mul_f64_e32 v[126:127], v[2:3], v[64:65]
	v_mul_f64_e32 v[38:39], v[38:39], v[78:79]
	v_mul_f64_e32 v[134:135], v[14:15], v[74:75]
	;; [unrolled: 1-line block ×5, first 2 shown]
	v_add_co_u32 v6, vcc_lo, s6, v86
	s_wait_alu 0xfffd
	v_add_co_ci_u32_e32 v7, vcc_lo, s7, v87, vcc_lo
	v_fma_f64 v[46:47], v[24:25], v[46:47], v[93:94]
	v_fma_f64 v[24:25], v[24:25], v[44:45], -v[26:27]
	v_mad_co_u64_u32 v[26:27], null, s17, v118, v[92:93]
	v_mul_f64_e32 v[44:45], v[30:31], v[56:57]
	v_mul_f64_e32 v[118:119], v[22:23], v[60:61]
	v_fma_f64 v[2:3], v[40:41], v[50:51], v[114:115]
	v_fma_f64 v[82:83], v[16:17], v[82:83], v[116:117]
	v_fma_f64 v[80:81], v[16:17], v[80:81], -v[18:19]
	v_mul_f64_e32 v[92:93], v[34:35], v[52:53]
	v_mul_f64_e32 v[30:31], v[30:31], v[58:59]
	;; [unrolled: 1-line block ×3, first 2 shown]
	v_fma_f64 v[14:15], v[36:37], v[78:79], v[120:121]
	v_fma_f64 v[18:19], v[4:5], v[70:71], v[124:125]
	v_fma_f64 v[16:17], v[36:37], v[76:77], -v[38:39]
	v_fma_f64 v[4:5], v[4:5], v[68:69], -v[136:137]
	v_add_co_u32 v23, vcc_lo, v6, v84
	v_fma_f64 v[66:67], v[0:1], v[66:67], v[126:127]
	s_wait_alu 0xfffd
	v_add_co_ci_u32_e32 v22, vcc_lo, v7, v85, vcc_lo
	v_fma_f64 v[6:7], v[40:41], v[48:49], -v[42:43]
	v_lshlrev_b64_e32 v[42:43], 4, v[95:96]
	v_mad_co_u64_u32 v[50:51], null, s17, v144, v[106:107]
	v_mad_co_u64_u32 v[143:144], null, s17, v145, v[108:109]
	v_mov_b32_e32 v106, v133
	v_mov_b32_e32 v108, v142
	v_lshlrev_b64_e32 v[76:77], 4, v[103:104]
	v_lshlrev_b64_e32 v[70:71], 4, v[97:98]
	v_mov_b32_e32 v110, v50
	v_lshlrev_b64_e32 v[78:79], 4, v[105:106]
	v_mov_b32_e32 v112, v143
	s_delay_alu instid0(VALU_DEP_3) | instskip(SKIP_2) | instid1(VALU_DEP_4)
	v_lshlrev_b64_e32 v[84:85], 4, v[109:110]
	v_add_f64_e32 v[114:115], v[10:11], v[46:47]
	v_add_f64_e32 v[116:117], v[8:9], v[24:25]
	v_lshlrev_b64_e32 v[86:87], 4, v[111:112]
	v_fma_f64 v[44:45], v[28:29], v[58:59], v[44:45]
	v_fma_f64 v[58:59], v[20:21], v[62:63], v[118:119]
	;; [unrolled: 1-line block ×3, first 2 shown]
	v_fma_f64 v[12:13], v[12:13], v[72:73], -v[134:135]
	v_fma_f64 v[20:21], v[20:21], v[60:61], -v[138:139]
	v_fma_f64 v[54:55], v[32:33], v[54:55], v[92:93]
	v_mov_b32_e32 v92, v26
	v_fma_f64 v[28:29], v[28:29], v[56:57], -v[30:31]
	v_fma_f64 v[30:31], v[32:33], v[52:53], -v[34:35]
	v_add_f64_e32 v[32:33], v[46:47], v[2:3]
	v_add_f64_e64 v[34:35], v[46:47], -v[2:3]
	v_lshlrev_b64_e32 v[40:41], 4, v[91:92]
	v_fma_f64 v[26:27], v[0:1], v[64:65], -v[140:141]
	v_lshlrev_b64_e32 v[0:1], 4, v[89:90]
	v_add_f64_e32 v[46:47], v[82:83], v[14:15]
	v_add_f64_e64 v[48:49], v[82:83], -v[14:15]
	v_lshlrev_b64_e32 v[72:73], 4, v[99:100]
	v_add_f64_e64 v[88:89], v[24:25], -v[6:7]
	v_add_f64_e32 v[24:25], v[24:25], v[6:7]
	v_lshlrev_b64_e32 v[74:75], 4, v[101:102]
	v_add_f64_e64 v[90:91], v[80:81], -v[16:17]
	v_add_co_u32 v0, vcc_lo, v23, v0
	s_wait_alu 0xfffd
	v_add_co_ci_u32_e32 v1, vcc_lo, v22, v1, vcc_lo
	v_add_f64_e32 v[36:37], v[82:83], v[114:115]
	v_add_f64_e32 v[38:39], v[80:81], v[116:117]
	v_lshlrev_b64_e32 v[82:83], 4, v[107:108]
	v_add_f64_e32 v[80:81], v[80:81], v[16:17]
	v_add_f64_e32 v[56:57], v[58:59], v[66:67]
	;; [unrolled: 1-line block ×3, first 2 shown]
	v_add_f64_e64 v[92:93], v[12:13], -v[4:5]
	v_add_f64_e32 v[94:95], v[12:13], v[4:5]
	v_add_f64_e64 v[52:53], v[62:63], -v[18:19]
	v_add_f64_e64 v[60:61], v[58:59], -v[66:67]
	v_add_f64_e32 v[64:65], v[44:45], v[54:55]
	v_add_f64_e64 v[68:69], v[44:45], -v[54:55]
	v_mul_f64_e32 v[104:105], s[4:5], v[32:33]
	s_wait_alu 0xfffe
	v_mul_f64_e32 v[106:107], s[18:19], v[34:35]
	v_mul_f64_e32 v[108:109], s[0:1], v[32:33]
	;; [unrolled: 1-line block ×5, first 2 shown]
	v_add_f64_e64 v[96:97], v[20:21], -v[26:27]
	v_add_f64_e32 v[98:99], v[20:21], v[26:27]
	v_add_f64_e64 v[100:101], v[28:29], -v[30:31]
	v_add_f64_e32 v[102:103], v[28:29], v[30:31]
	v_mul_f64_e32 v[116:117], s[22:23], v[46:47]
	v_mul_f64_e32 v[118:119], s[30:31], v[48:49]
	v_mul_f64_e32 v[132:133], s[24:25], v[46:47]
	v_mul_f64_e32 v[134:135], s[28:29], v[48:49]
	v_mul_f64_e32 v[160:161], s[4:5], v[46:47]
	v_mul_f64_e32 v[162:163], s[0:1], v[46:47]
	v_mul_f64_e32 v[46:47], s[8:9], v[46:47]
	v_mul_f64_e32 v[164:165], s[12:13], v[48:49]
	v_mul_f64_e32 v[166:167], s[20:21], v[48:49]
	v_mul_f64_e32 v[48:49], s[14:15], v[48:49]
	v_add_f64_e32 v[36:37], v[62:63], v[36:37]
	v_add_f64_e32 v[12:13], v[12:13], v[38:39]
	v_mul_f64_e32 v[62:63], s[8:9], v[32:33]
	v_mul_f64_e32 v[32:33], s[22:23], v[32:33]
	;; [unrolled: 1-line block ×11, first 2 shown]
	v_fma_f64 v[176:177], v[88:89], s[12:13], v[104:105]
	v_fma_f64 v[178:179], v[24:25], s[4:5], v[106:107]
	v_fma_f64 v[104:105], v[88:89], s[18:19], v[104:105]
	v_fma_f64 v[106:107], v[24:25], s[4:5], -v[106:107]
	v_fma_f64 v[180:181], v[88:89], s[10:11], v[108:109]
	v_fma_f64 v[182:183], v[24:25], s[0:1], v[110:111]
	v_fma_f64 v[108:109], v[88:89], s[20:21], v[108:109]
	v_fma_f64 v[110:111], v[24:25], s[0:1], -v[110:111]
	;; [unrolled: 4-line block ×3, first 2 shown]
	v_mul_f64_e32 v[138:139], s[26:27], v[52:53]
	v_mul_f64_e32 v[156:157], s[8:9], v[50:51]
	;; [unrolled: 1-line block ×4, first 2 shown]
	v_fma_f64 v[194:195], v[80:81], s[22:23], v[118:119]
	v_fma_f64 v[206:207], v[80:81], s[24:25], v[134:135]
	v_fma_f64 v[134:135], v[80:81], s[24:25], -v[134:135]
	v_fma_f64 v[208:209], v[90:91], s[18:19], v[160:161]
	v_fma_f64 v[160:161], v[90:91], s[12:13], v[160:161]
	;; [unrolled: 1-line block ×6, first 2 shown]
	v_add_f64_e32 v[36:37], v[58:59], v[36:37]
	v_add_f64_e32 v[12:13], v[20:21], v[12:13]
	v_fma_f64 v[188:189], v[88:89], s[34:35], v[62:63]
	v_fma_f64 v[192:193], v[88:89], s[30:31], v[32:33]
	;; [unrolled: 1-line block ×4, first 2 shown]
	v_fma_f64 v[38:39], v[24:25], s[24:25], -v[38:39]
	v_fma_f64 v[62:63], v[88:89], s[14:15], v[62:63]
	v_fma_f64 v[88:89], v[24:25], s[22:23], v[34:35]
	v_fma_f64 v[24:25], v[24:25], s[22:23], -v[34:35]
	v_mul_f64_e32 v[20:21], s[34:35], v[52:53]
	v_mul_f64_e32 v[58:59], s[12:13], v[52:53]
	;; [unrolled: 1-line block ×3, first 2 shown]
	v_fma_f64 v[34:35], v[90:91], s[26:27], v[116:117]
	v_fma_f64 v[196:197], v[92:93], s[10:11], v[120:121]
	;; [unrolled: 1-line block ×7, first 2 shown]
	v_fma_f64 v[166:167], v[80:81], s[0:1], -v[166:167]
	v_fma_f64 v[216:217], v[80:81], s[8:9], v[48:49]
	v_fma_f64 v[48:49], v[80:81], s[8:9], -v[48:49]
	v_add_f64_e32 v[104:105], v[10:11], v[104:105]
	v_add_f64_e32 v[106:107], v[8:9], v[106:107]
	;; [unrolled: 1-line block ×5, first 2 shown]
	v_mul_f64_e32 v[140:141], s[4:5], v[56:57]
	v_mul_f64_e32 v[142:143], s[18:19], v[60:61]
	;; [unrolled: 1-line block ×10, first 2 shown]
	v_add_f64_e32 v[36:37], v[44:45], v[36:37]
	v_add_f64_e32 v[12:13], v[28:29], v[12:13]
	v_fma_f64 v[28:29], v[102:103], s[24:25], v[130:131]
	v_fma_f64 v[44:45], v[90:91], s[30:31], v[116:117]
	v_fma_f64 v[116:117], v[80:81], s[22:23], -v[118:119]
	v_fma_f64 v[118:119], v[92:93], s[20:21], v[120:121]
	v_fma_f64 v[120:121], v[94:95], s[0:1], -v[122:123]
	;; [unrolled: 2-line block ×4, first 2 shown]
	v_fma_f64 v[130:131], v[90:91], s[36:37], v[132:133]
	v_fma_f64 v[132:133], v[90:91], s[28:29], v[132:133]
	;; [unrolled: 1-line block ×3, first 2 shown]
	v_fma_f64 v[164:165], v[80:81], s[4:5], -v[164:165]
	v_add_f64_e32 v[80:81], v[10:11], v[176:177]
	v_add_f64_e32 v[176:177], v[8:9], v[178:179]
	;; [unrolled: 1-line block ×9, first 2 shown]
	v_fma_f64 v[188:189], v[92:93], s[14:15], v[156:157]
	v_fma_f64 v[156:157], v[92:93], s[34:35], v[156:157]
	;; [unrolled: 1-line block ×3, first 2 shown]
	v_fma_f64 v[58:59], v[94:95], s[4:5], -v[58:59]
	v_fma_f64 v[220:221], v[94:95], s[24:25], v[52:53]
	v_fma_f64 v[52:53], v[94:95], s[24:25], -v[52:53]
	v_add_f64_e32 v[110:111], v[134:135], v[110:111]
	v_add_f64_e32 v[112:113], v[160:161], v[112:113]
	v_fma_f64 v[134:135], v[96:97], s[36:37], v[154:155]
	v_mul_f64_e32 v[148:149], s[0:1], v[64:65]
	v_fma_f64 v[160:161], v[98:99], s[24:25], -v[170:171]
	v_mul_f64_e32 v[150:151], s[22:23], v[64:65]
	v_mul_f64_e32 v[64:65], s[4:5], v[64:65]
	;; [unrolled: 1-line block ×3, first 2 shown]
	v_add_f64_e32 v[36:37], v[54:55], v[36:37]
	v_add_f64_e32 v[12:13], v[30:31], v[12:13]
	;; [unrolled: 1-line block ×8, first 2 shown]
	v_fma_f64 v[88:89], v[92:93], s[30:31], v[136:137]
	v_fma_f64 v[186:187], v[94:95], s[22:23], v[138:139]
	;; [unrolled: 1-line block ×3, first 2 shown]
	v_fma_f64 v[138:139], v[94:95], s[22:23], -v[138:139]
	v_fma_f64 v[190:191], v[92:93], s[18:19], v[158:159]
	v_fma_f64 v[158:159], v[92:93], s[12:13], v[158:159]
	;; [unrolled: 1-line block ×5, first 2 shown]
	v_fma_f64 v[20:21], v[94:95], s[8:9], -v[20:21]
	v_add_f64_e32 v[44:45], v[44:45], v[104:105]
	v_add_f64_e32 v[94:95], v[116:117], v[106:107]
	;; [unrolled: 1-line block ×11, first 2 shown]
	v_fma_f64 v[116:117], v[98:99], s[4:5], -v[142:143]
	v_fma_f64 v[130:131], v[96:97], s[30:31], v[152:153]
	v_fma_f64 v[132:133], v[96:97], s[26:27], v[152:153]
	v_fma_f64 v[152:153], v[98:99], s[22:23], -v[168:169]
	v_fma_f64 v[162:163], v[98:99], s[0:1], v[60:61]
	v_fma_f64 v[60:61], v[98:99], s[0:1], -v[60:61]
	v_mul_f64_e32 v[174:175], s[30:31], v[68:69]
	v_mul_f64_e32 v[68:69], s[18:19], v[68:69]
	v_add_f64_e32 v[36:37], v[66:67], v[36:37]
	v_add_f64_e32 v[12:13], v[26:27], v[12:13]
	;; [unrolled: 1-line block ×9, first 2 shown]
	v_fma_f64 v[66:67], v[96:97], s[12:13], v[140:141]
	v_fma_f64 v[90:91], v[98:99], s[4:5], v[142:143]
	v_fma_f64 v[114:115], v[96:97], s[18:19], v[140:141]
	v_fma_f64 v[140:141], v[96:97], s[28:29], v[154:155]
	v_fma_f64 v[142:143], v[96:97], s[10:11], v[56:57]
	v_fma_f64 v[56:57], v[96:97], s[20:21], v[56:57]
	v_fma_f64 v[96:97], v[98:99], s[22:23], v[168:169]
	v_fma_f64 v[154:155], v[98:99], s[24:25], v[170:171]
	v_add_f64_e32 v[44:45], v[118:119], v[44:45]
	v_add_f64_e32 v[94:95], v[120:121], v[94:95]
	;; [unrolled: 1-line block ×11, first 2 shown]
	v_fma_f64 v[112:113], v[100:101], s[12:13], v[64:65]
	v_fma_f64 v[64:65], v[100:101], s[18:19], v[64:65]
	;; [unrolled: 1-line block ×4, first 2 shown]
	v_fma_f64 v[118:119], v[102:103], s[0:1], -v[172:173]
	v_fma_f64 v[136:137], v[102:103], s[22:23], -v[174:175]
	v_fma_f64 v[138:139], v[102:103], s[4:5], v[68:69]
	v_fma_f64 v[68:69], v[102:103], s[4:5], -v[68:69]
	v_add_f64_e32 v[18:19], v[18:19], v[36:37]
	v_add_f64_e32 v[4:5], v[4:5], v[12:13]
	;; [unrolled: 1-line block ×11, first 2 shown]
	v_fma_f64 v[46:47], v[100:101], s[14:15], v[144:145]
	v_fma_f64 v[48:49], v[102:103], s[8:9], v[146:147]
	v_fma_f64 v[52:53], v[102:103], s[8:9], -v[146:147]
	v_fma_f64 v[54:55], v[100:101], s[10:11], v[148:149]
	v_fma_f64 v[58:59], v[100:101], s[20:21], v[148:149]
	v_fma_f64 v[92:93], v[100:101], s[26:27], v[150:151]
	v_fma_f64 v[100:101], v[102:103], s[0:1], v[172:173]
	v_fma_f64 v[120:121], v[102:103], s[22:23], v[174:175]
	v_add_f64_e32 v[44:45], v[122:123], v[44:45]
	v_add_f64_e32 v[66:67], v[66:67], v[88:89]
	;; [unrolled: 1-line block ×22, first 2 shown]
	v_add_co_u32 v130, vcc_lo, v23, v40
	s_wait_alu 0xfffd
	v_add_co_ci_u32_e32 v131, vcc_lo, v22, v41, vcc_lo
	v_add_co_u32 v132, vcc_lo, v23, v42
	s_wait_alu 0xfffd
	v_add_co_ci_u32_e32 v133, vcc_lo, v22, v43, vcc_lo
	v_add_f64_e32 v[14:15], v[126:127], v[44:45]
	v_add_f64_e32 v[18:19], v[46:47], v[66:67]
	;; [unrolled: 1-line block ×4, first 2 shown]
	v_add_co_u32 v70, vcc_lo, v23, v70
	v_add_f64_e32 v[10:11], v[204:205], v[34:35]
	v_add_f64_e32 v[34:35], v[64:65], v[32:33]
	;; [unrolled: 1-line block ×7, first 2 shown]
	s_wait_alu 0xfffd
	v_add_co_ci_u32_e32 v71, vcc_lo, v22, v71, vcc_lo
	v_add_f64_e32 v[38:39], v[2:3], v[56:57]
	v_add_f64_e32 v[36:37], v[6:7], v[104:105]
	;; [unrolled: 1-line block ×11, first 2 shown]
	v_add_co_u32 v6, vcc_lo, v23, v72
	s_wait_alu 0xfffd
	v_add_co_ci_u32_e32 v7, vcc_lo, v22, v73, vcc_lo
	v_add_co_u32 v20, vcc_lo, v23, v74
	s_wait_alu 0xfffd
	v_add_co_ci_u32_e32 v21, vcc_lo, v22, v75, vcc_lo
	;; [unrolled: 3-line block ×7, first 2 shown]
	s_clause 0xa
	global_store_b128 v[0:1], v[36:39], off
	global_store_b128 v[130:131], v[32:35], off
	;; [unrolled: 1-line block ×11, first 2 shown]
.LBB0_21:
	s_nop 0
	s_sendmsg sendmsg(MSG_DEALLOC_VGPRS)
	s_endpgm
	.section	.rodata,"a",@progbits
	.p2align	6, 0x0
	.amdhsa_kernel fft_rtc_fwd_len1617_factors_3_7_7_11_wgs_231_tpt_231_dp_op_CI_CI_sbrr_dirReg
		.amdhsa_group_segment_fixed_size 0
		.amdhsa_private_segment_fixed_size 0
		.amdhsa_kernarg_size 104
		.amdhsa_user_sgpr_count 2
		.amdhsa_user_sgpr_dispatch_ptr 0
		.amdhsa_user_sgpr_queue_ptr 0
		.amdhsa_user_sgpr_kernarg_segment_ptr 1
		.amdhsa_user_sgpr_dispatch_id 0
		.amdhsa_user_sgpr_private_segment_size 0
		.amdhsa_wavefront_size32 1
		.amdhsa_uses_dynamic_stack 0
		.amdhsa_enable_private_segment 0
		.amdhsa_system_sgpr_workgroup_id_x 1
		.amdhsa_system_sgpr_workgroup_id_y 0
		.amdhsa_system_sgpr_workgroup_id_z 0
		.amdhsa_system_sgpr_workgroup_info 0
		.amdhsa_system_vgpr_workitem_id 0
		.amdhsa_next_free_vgpr 222
		.amdhsa_next_free_sgpr 43
		.amdhsa_reserve_vcc 1
		.amdhsa_float_round_mode_32 0
		.amdhsa_float_round_mode_16_64 0
		.amdhsa_float_denorm_mode_32 3
		.amdhsa_float_denorm_mode_16_64 3
		.amdhsa_fp16_overflow 0
		.amdhsa_workgroup_processor_mode 1
		.amdhsa_memory_ordered 1
		.amdhsa_forward_progress 0
		.amdhsa_round_robin_scheduling 0
		.amdhsa_exception_fp_ieee_invalid_op 0
		.amdhsa_exception_fp_denorm_src 0
		.amdhsa_exception_fp_ieee_div_zero 0
		.amdhsa_exception_fp_ieee_overflow 0
		.amdhsa_exception_fp_ieee_underflow 0
		.amdhsa_exception_fp_ieee_inexact 0
		.amdhsa_exception_int_div_zero 0
	.end_amdhsa_kernel
	.text
.Lfunc_end0:
	.size	fft_rtc_fwd_len1617_factors_3_7_7_11_wgs_231_tpt_231_dp_op_CI_CI_sbrr_dirReg, .Lfunc_end0-fft_rtc_fwd_len1617_factors_3_7_7_11_wgs_231_tpt_231_dp_op_CI_CI_sbrr_dirReg
                                        ; -- End function
	.section	.AMDGPU.csdata,"",@progbits
; Kernel info:
; codeLenInByte = 8104
; NumSgprs: 45
; NumVgprs: 222
; ScratchSize: 0
; MemoryBound: 1
; FloatMode: 240
; IeeeMode: 1
; LDSByteSize: 0 bytes/workgroup (compile time only)
; SGPRBlocks: 5
; VGPRBlocks: 27
; NumSGPRsForWavesPerEU: 45
; NumVGPRsForWavesPerEU: 222
; Occupancy: 6
; WaveLimiterHint : 1
; COMPUTE_PGM_RSRC2:SCRATCH_EN: 0
; COMPUTE_PGM_RSRC2:USER_SGPR: 2
; COMPUTE_PGM_RSRC2:TRAP_HANDLER: 0
; COMPUTE_PGM_RSRC2:TGID_X_EN: 1
; COMPUTE_PGM_RSRC2:TGID_Y_EN: 0
; COMPUTE_PGM_RSRC2:TGID_Z_EN: 0
; COMPUTE_PGM_RSRC2:TIDIG_COMP_CNT: 0
	.text
	.p2alignl 7, 3214868480
	.fill 96, 4, 3214868480
	.type	__hip_cuid_cb1254354b4d49e8,@object ; @__hip_cuid_cb1254354b4d49e8
	.section	.bss,"aw",@nobits
	.globl	__hip_cuid_cb1254354b4d49e8
__hip_cuid_cb1254354b4d49e8:
	.byte	0                               ; 0x0
	.size	__hip_cuid_cb1254354b4d49e8, 1

	.ident	"AMD clang version 19.0.0git (https://github.com/RadeonOpenCompute/llvm-project roc-6.4.0 25133 c7fe45cf4b819c5991fe208aaa96edf142730f1d)"
	.section	".note.GNU-stack","",@progbits
	.addrsig
	.addrsig_sym __hip_cuid_cb1254354b4d49e8
	.amdgpu_metadata
---
amdhsa.kernels:
  - .args:
      - .actual_access:  read_only
        .address_space:  global
        .offset:         0
        .size:           8
        .value_kind:     global_buffer
      - .offset:         8
        .size:           8
        .value_kind:     by_value
      - .actual_access:  read_only
        .address_space:  global
        .offset:         16
        .size:           8
        .value_kind:     global_buffer
      - .actual_access:  read_only
        .address_space:  global
        .offset:         24
        .size:           8
        .value_kind:     global_buffer
      - .actual_access:  read_only
        .address_space:  global
        .offset:         32
        .size:           8
        .value_kind:     global_buffer
      - .offset:         40
        .size:           8
        .value_kind:     by_value
      - .actual_access:  read_only
        .address_space:  global
        .offset:         48
        .size:           8
        .value_kind:     global_buffer
      - .actual_access:  read_only
        .address_space:  global
        .offset:         56
        .size:           8
        .value_kind:     global_buffer
      - .offset:         64
        .size:           4
        .value_kind:     by_value
      - .actual_access:  read_only
        .address_space:  global
        .offset:         72
        .size:           8
        .value_kind:     global_buffer
      - .actual_access:  read_only
        .address_space:  global
        .offset:         80
        .size:           8
        .value_kind:     global_buffer
      - .actual_access:  read_only
        .address_space:  global
        .offset:         88
        .size:           8
        .value_kind:     global_buffer
      - .actual_access:  write_only
        .address_space:  global
        .offset:         96
        .size:           8
        .value_kind:     global_buffer
    .group_segment_fixed_size: 0
    .kernarg_segment_align: 8
    .kernarg_segment_size: 104
    .language:       OpenCL C
    .language_version:
      - 2
      - 0
    .max_flat_workgroup_size: 231
    .name:           fft_rtc_fwd_len1617_factors_3_7_7_11_wgs_231_tpt_231_dp_op_CI_CI_sbrr_dirReg
    .private_segment_fixed_size: 0
    .sgpr_count:     45
    .sgpr_spill_count: 0
    .symbol:         fft_rtc_fwd_len1617_factors_3_7_7_11_wgs_231_tpt_231_dp_op_CI_CI_sbrr_dirReg.kd
    .uniform_work_group_size: 1
    .uses_dynamic_stack: false
    .vgpr_count:     222
    .vgpr_spill_count: 0
    .wavefront_size: 32
    .workgroup_processor_mode: 1
amdhsa.target:   amdgcn-amd-amdhsa--gfx1201
amdhsa.version:
  - 1
  - 2
...

	.end_amdgpu_metadata
